;; amdgpu-corpus repo=zjin-lcf/HeCBench kind=compiled arch=gfx1250 opt=O3
	.amdgcn_target "amdgcn-amd-amdhsa--gfx1250"
	.amdhsa_code_object_version 6
	.section	.text._ZL14timedReductionPKfPfPl,"axG",@progbits,_ZL14timedReductionPKfPfPl,comdat
	.globl	_ZL14timedReductionPKfPfPl      ; -- Begin function _ZL14timedReductionPKfPfPl
	.p2align	8
	.type	_ZL14timedReductionPKfPfPl,@function
_ZL14timedReductionPKfPfPl:             ; @_ZL14timedReductionPKfPfPl
; %bb.0:
	s_clause 0x1
	s_load_b128 s[4:7], s[0:1], 0x0
	s_load_b64 s[2:3], s[0:1], 0x10
	s_bfe_u32 s8, ttmp6, 0x4000c
	s_and_b32 s9, ttmp6, 15
	s_add_co_i32 s8, s8, 1
	v_cmp_eq_u32_e32 vcc_lo, 0, v0
	s_mul_i32 s8, ttmp9, s8
	s_delay_alu instid0(SALU_CYCLE_1) | instskip(SKIP_1) | instid1(SALU_CYCLE_1)
	s_add_co_i32 s8, s9, s8
	s_getreg_b32 s9, hwreg(HW_REG_IB_STS2, 6, 4)
	s_cmp_eq_u32 s9, 0
	s_mov_b32 s9, 0
	s_cselect_b32 s10, ttmp9, s8
	s_and_saveexec_b32 s8, vcc_lo
	s_cbranch_execz .LBB0_2
; %bb.1:
	s_get_shader_cycles_u64 s[12:13]
	v_mov_b32_e32 v1, s10
	v_mov_b64_e32 v[2:3], s[12:13]
	s_wait_kmcnt 0x0
	global_store_b64 v1, v[2:3], s[2:3] scale_offset
.LBB0_2:
	s_wait_xcnt 0x0
	s_or_b32 exec_lo, exec_lo, s8
	s_load_b32 s8, s[0:1], 0x24
	v_dual_mov_b32 v3, 0 :: v_dual_lshlrev_b32 v2, 2, v0
	s_delay_alu instid0(VALU_DEP_1) | instskip(SKIP_1) | instid1(VALU_DEP_2)
	v_add_nc_u32_e32 v1, 0, v2
	s_wait_kmcnt 0x0
	v_add_nc_u64_e32 v[4:5], s[4:5], v[2:3]
	s_and_b32 s11, s8, 0xffff
	s_delay_alu instid0(SALU_CYCLE_1) | instskip(SKIP_1) | instid1(VALU_DEP_1)
	s_lshl_b32 s8, s11, 2
	s_cmp_eq_u32 s11, 0
	v_add_nc_u64_e32 v[4:5], s[8:9], v[4:5]
	v_add_nc_u32_e32 v2, s8, v1
	s_clause 0x1
	global_load_b32 v3, v0, s[4:5] scale_offset
	global_load_b32 v6, v[4:5], off
	s_load_b32 s1, s[0:1], 0x18
	s_wait_loadcnt 0x1
	ds_store_b32 v1, v3
	s_wait_loadcnt 0x0
	ds_store_b32 v2, v6
	s_cbranch_scc0 .LBB0_9
.LBB0_3:
	s_wait_xcnt 0x0
	s_and_saveexec_b32 s0, vcc_lo
	s_cbranch_execz .LBB0_5
; %bb.4:
	v_dual_mov_b32 v0, 0 :: v_dual_mov_b32 v1, s10
	ds_load_b32 v0, v0
	s_wait_dscnt 0x0
	global_store_b32 v1, v0, s[6:7] scale_offset
.LBB0_5:
	s_wait_xcnt 0x0
	s_or_b32 exec_lo, exec_lo, s0
	s_wait_storecnt_dscnt 0x0
	s_barrier_signal -1
	s_barrier_wait -1
	s_and_saveexec_b32 s0, vcc_lo
	s_cbranch_execz .LBB0_7
; %bb.6:
	s_wait_kmcnt 0x0
	s_add_co_i32 s4, s1, s10
	s_get_shader_cycles_u64 s[0:1]
	v_mov_b32_e32 v2, s4
	v_mov_b64_e32 v[0:1], s[0:1]
	global_store_b64 v2, v[0:1], s[2:3] scale_offset
.LBB0_7:
	s_endpgm
.LBB0_8:                                ;   in Loop: Header=BB0_9 Depth=1
	s_or_b32 exec_lo, exec_lo, s4
	s_wait_xcnt 0x0
	s_lshr_b32 s0, s11, 1
	s_cmp_lt_u32 s11, 2
	s_mov_b32 s11, s0
	s_cbranch_scc1 .LBB0_3
.LBB0_9:                                ; =>This Inner Loop Header: Depth=1
	s_mov_b32 s4, exec_lo
	s_wait_storecnt_dscnt 0x0
	s_barrier_signal -1
	s_barrier_wait -1
	v_cmpx_gt_u32_e64 s11, v0
	s_cbranch_execz .LBB0_8
; %bb.10:                               ;   in Loop: Header=BB0_9 Depth=1
	v_lshl_add_u32 v2, s11, 2, v1
	ds_load_b32 v3, v1
	ds_load_b32 v2, v2
	s_wait_dscnt 0x0
	s_wait_xcnt 0x0
	v_cmp_lt_f32_e64 s0, v2, v3
	s_and_b32 exec_lo, exec_lo, s0
	s_cbranch_execz .LBB0_8
; %bb.11:                               ;   in Loop: Header=BB0_9 Depth=1
	ds_store_b32 v1, v2
	s_branch .LBB0_8
	.section	.rodata,"a",@progbits
	.p2align	6, 0x0
	.amdhsa_kernel _ZL14timedReductionPKfPfPl
		.amdhsa_group_segment_fixed_size 0
		.amdhsa_private_segment_fixed_size 0
		.amdhsa_kernarg_size 280
		.amdhsa_user_sgpr_count 2
		.amdhsa_user_sgpr_dispatch_ptr 0
		.amdhsa_user_sgpr_queue_ptr 0
		.amdhsa_user_sgpr_kernarg_segment_ptr 1
		.amdhsa_user_sgpr_dispatch_id 0
		.amdhsa_user_sgpr_kernarg_preload_length 0
		.amdhsa_user_sgpr_kernarg_preload_offset 0
		.amdhsa_user_sgpr_private_segment_size 0
		.amdhsa_wavefront_size32 1
		.amdhsa_uses_dynamic_stack 0
		.amdhsa_enable_private_segment 0
		.amdhsa_system_sgpr_workgroup_id_x 1
		.amdhsa_system_sgpr_workgroup_id_y 0
		.amdhsa_system_sgpr_workgroup_id_z 0
		.amdhsa_system_sgpr_workgroup_info 0
		.amdhsa_system_vgpr_workitem_id 0
		.amdhsa_next_free_vgpr 7
		.amdhsa_next_free_sgpr 14
		.amdhsa_named_barrier_count 0
		.amdhsa_reserve_vcc 1
		.amdhsa_float_round_mode_32 0
		.amdhsa_float_round_mode_16_64 0
		.amdhsa_float_denorm_mode_32 3
		.amdhsa_float_denorm_mode_16_64 3
		.amdhsa_fp16_overflow 0
		.amdhsa_memory_ordered 1
		.amdhsa_forward_progress 1
		.amdhsa_inst_pref_size 4
		.amdhsa_round_robin_scheduling 0
		.amdhsa_exception_fp_ieee_invalid_op 0
		.amdhsa_exception_fp_denorm_src 0
		.amdhsa_exception_fp_ieee_div_zero 0
		.amdhsa_exception_fp_ieee_overflow 0
		.amdhsa_exception_fp_ieee_underflow 0
		.amdhsa_exception_fp_ieee_inexact 0
		.amdhsa_exception_int_div_zero 0
	.end_amdhsa_kernel
	.section	.text._ZL14timedReductionPKfPfPl,"axG",@progbits,_ZL14timedReductionPKfPfPl,comdat
.Lfunc_end0:
	.size	_ZL14timedReductionPKfPfPl, .Lfunc_end0-_ZL14timedReductionPKfPfPl
                                        ; -- End function
	.set _ZL14timedReductionPKfPfPl.num_vgpr, 7
	.set _ZL14timedReductionPKfPfPl.num_agpr, 0
	.set _ZL14timedReductionPKfPfPl.numbered_sgpr, 14
	.set _ZL14timedReductionPKfPfPl.num_named_barrier, 0
	.set _ZL14timedReductionPKfPfPl.private_seg_size, 0
	.set _ZL14timedReductionPKfPfPl.uses_vcc, 1
	.set _ZL14timedReductionPKfPfPl.uses_flat_scratch, 0
	.set _ZL14timedReductionPKfPfPl.has_dyn_sized_stack, 0
	.set _ZL14timedReductionPKfPfPl.has_recursion, 0
	.set _ZL14timedReductionPKfPfPl.has_indirect_call, 0
	.section	.AMDGPU.csdata,"",@progbits
; Kernel info:
; codeLenInByte = 456
; TotalNumSgprs: 16
; NumVgprs: 7
; ScratchSize: 0
; MemoryBound: 0
; FloatMode: 240
; IeeeMode: 1
; LDSByteSize: 0 bytes/workgroup (compile time only)
; SGPRBlocks: 0
; VGPRBlocks: 0
; NumSGPRsForWavesPerEU: 16
; NumVGPRsForWavesPerEU: 7
; NamedBarCnt: 0
; Occupancy: 16
; WaveLimiterHint : 0
; COMPUTE_PGM_RSRC2:SCRATCH_EN: 0
; COMPUTE_PGM_RSRC2:USER_SGPR: 2
; COMPUTE_PGM_RSRC2:TRAP_HANDLER: 0
; COMPUTE_PGM_RSRC2:TGID_X_EN: 1
; COMPUTE_PGM_RSRC2:TGID_Y_EN: 0
; COMPUTE_PGM_RSRC2:TGID_Z_EN: 0
; COMPUTE_PGM_RSRC2:TIDIG_COMP_CNT: 0
	.section	.AMDGPU.gpr_maximums,"",@progbits
	.set amdgpu.max_num_vgpr, 0
	.set amdgpu.max_num_agpr, 0
	.set amdgpu.max_num_sgpr, 0
	.section	.AMDGPU.csdata,"",@progbits
	.type	__hip_cuid_5d7b851f3ce47b8e,@object ; @__hip_cuid_5d7b851f3ce47b8e
	.section	.bss,"aw",@nobits
	.globl	__hip_cuid_5d7b851f3ce47b8e
__hip_cuid_5d7b851f3ce47b8e:
	.byte	0                               ; 0x0
	.size	__hip_cuid_5d7b851f3ce47b8e, 1

	.ident	"AMD clang version 22.0.0git (https://github.com/RadeonOpenCompute/llvm-project roc-7.2.4 26084 f58b06dce1f9c15707c5f808fd002e18c2accf7e)"
	.section	".note.GNU-stack","",@progbits
	.addrsig
	.addrsig_sym __hip_cuid_5d7b851f3ce47b8e
	.amdgpu_metadata
---
amdhsa.kernels:
  - .args:
      - .address_space:  global
        .offset:         0
        .size:           8
        .value_kind:     global_buffer
      - .address_space:  global
        .offset:         8
        .size:           8
        .value_kind:     global_buffer
      - .address_space:  global
        .offset:         16
        .size:           8
        .value_kind:     global_buffer
      - .offset:         24
        .size:           4
        .value_kind:     hidden_block_count_x
      - .offset:         28
        .size:           4
        .value_kind:     hidden_block_count_y
      - .offset:         32
        .size:           4
        .value_kind:     hidden_block_count_z
      - .offset:         36
        .size:           2
        .value_kind:     hidden_group_size_x
      - .offset:         38
        .size:           2
        .value_kind:     hidden_group_size_y
      - .offset:         40
        .size:           2
        .value_kind:     hidden_group_size_z
      - .offset:         42
        .size:           2
        .value_kind:     hidden_remainder_x
      - .offset:         44
        .size:           2
        .value_kind:     hidden_remainder_y
      - .offset:         46
        .size:           2
        .value_kind:     hidden_remainder_z
      - .offset:         64
        .size:           8
        .value_kind:     hidden_global_offset_x
      - .offset:         72
        .size:           8
        .value_kind:     hidden_global_offset_y
      - .offset:         80
        .size:           8
        .value_kind:     hidden_global_offset_z
      - .offset:         88
        .size:           2
        .value_kind:     hidden_grid_dims
      - .offset:         144
        .size:           4
        .value_kind:     hidden_dynamic_lds_size
    .group_segment_fixed_size: 0
    .kernarg_segment_align: 8
    .kernarg_segment_size: 280
    .language:       OpenCL C
    .language_version:
      - 2
      - 0
    .max_flat_workgroup_size: 1024
    .name:           _ZL14timedReductionPKfPfPl
    .private_segment_fixed_size: 0
    .sgpr_count:     16
    .sgpr_spill_count: 0
    .symbol:         _ZL14timedReductionPKfPfPl.kd
    .uniform_work_group_size: 1
    .uses_dynamic_stack: false
    .vgpr_count:     7
    .vgpr_spill_count: 0
    .wavefront_size: 32
amdhsa.target:   amdgcn-amd-amdhsa--gfx1250
amdhsa.version:
  - 1
  - 2
...

	.end_amdgpu_metadata
